;; amdgpu-corpus repo=ROCm/rocFFT kind=compiled arch=gfx1030 opt=O3
	.text
	.amdgcn_target "amdgcn-amd-amdhsa--gfx1030"
	.amdhsa_code_object_version 6
	.protected	bluestein_single_fwd_len594_dim1_dp_op_CI_CI ; -- Begin function bluestein_single_fwd_len594_dim1_dp_op_CI_CI
	.globl	bluestein_single_fwd_len594_dim1_dp_op_CI_CI
	.p2align	8
	.type	bluestein_single_fwd_len594_dim1_dp_op_CI_CI,@function
bluestein_single_fwd_len594_dim1_dp_op_CI_CI: ; @bluestein_single_fwd_len594_dim1_dp_op_CI_CI
; %bb.0:
	s_load_dwordx4 s[0:3], s[4:5], 0x28
	v_mul_u32_u24_e32 v1, 0x296, v0
	v_mov_b32_e32 v97, 0
	v_lshrrev_b32_e32 v1, 16, v1
	v_add_nc_u32_e32 v96, s6, v1
	s_waitcnt lgkmcnt(0)
	v_cmp_gt_u64_e32 vcc_lo, s[0:1], v[96:97]
	s_and_saveexec_b32 s0, vcc_lo
	s_cbranch_execz .LBB0_15
; %bb.1:
	s_clause 0x1
	s_load_dwordx2 s[14:15], s[4:5], 0x0
	s_load_dwordx2 s[12:13], s[4:5], 0x38
	v_mul_lo_u16 v1, 0x63, v1
	v_sub_nc_u16 v0, v0, v1
	v_and_b32_e32 v186, 0xffff, v0
	v_cmp_gt_u16_e32 vcc_lo, 54, v0
	v_lshlrev_b32_e32 v185, 4, v186
	s_and_saveexec_b32 s1, vcc_lo
	s_cbranch_execz .LBB0_3
; %bb.2:
	s_load_dwordx2 s[6:7], s[4:5], 0x18
	s_waitcnt lgkmcnt(0)
	v_add_co_u32 v22, s0, s14, v185
	v_add_co_ci_u32_e64 v23, null, s15, 0, s0
	global_load_dwordx4 v[0:3], v185, s[14:15]
	v_add_co_u32 v80, s0, 0x2000, v22
	v_add_co_ci_u32_e64 v81, s0, 0, v23, s0
	s_load_dwordx4 s[8:11], s[6:7], 0x0
	s_clause 0x1
	global_load_dwordx4 v[4:7], v185, s[14:15] offset:864
	global_load_dwordx4 v[8:11], v185, s[14:15] offset:1728
	s_waitcnt lgkmcnt(0)
	v_mad_u64_u32 v[20:21], null, s8, v186, 0
	v_mad_u64_u32 v[12:13], null, s10, v96, 0
	s_mul_i32 s6, s9, 0x360
	s_mul_hi_u32 s7, s8, 0x360
	s_add_i32 s7, s7, s6
	v_mov_b32_e32 v14, v21
	v_mad_u64_u32 v[15:16], null, s11, v96, v[13:14]
	v_add_co_u32 v16, s0, 0x800, v22
	v_add_co_ci_u32_e64 v17, s0, 0, v23, s0
	v_add_co_u32 v28, s0, 0x1000, v22
	v_mad_u64_u32 v[18:19], null, s9, v186, v[14:15]
	v_mov_b32_e32 v13, v15
	v_add_co_ci_u32_e64 v29, s0, 0, v23, s0
	v_add_co_u32 v72, s0, 0x1800, v22
	v_add_co_ci_u32_e64 v73, s0, 0, v23, s0
	v_mov_b32_e32 v21, v18
	v_lshlrev_b64 v[22:23], 4, v[12:13]
	s_clause 0x1
	global_load_dwordx4 v[12:15], v[16:17], off offset:544
	global_load_dwordx4 v[16:19], v[16:17], off offset:1408
	v_lshlrev_b64 v[20:21], 4, v[20:21]
	v_add_co_u32 v22, s0, s2, v22
	v_add_co_ci_u32_e64 v23, s0, s3, v23, s0
	s_mul_i32 s2, s8, 0x360
	v_add_co_u32 v32, s0, v22, v20
	v_add_co_ci_u32_e64 v33, s0, v23, v21, s0
	s_clause 0x1
	global_load_dwordx4 v[20:23], v[28:29], off offset:224
	global_load_dwordx4 v[24:27], v[28:29], off offset:1088
	v_add_co_u32 v36, s0, v32, s2
	v_add_co_ci_u32_e64 v37, s0, s7, v33, s0
	global_load_dwordx4 v[28:31], v[28:29], off offset:1952
	v_add_co_u32 v40, s0, v36, s2
	v_add_co_ci_u32_e64 v41, s0, s7, v37, s0
	s_clause 0x1
	global_load_dwordx4 v[32:35], v[32:33], off
	global_load_dwordx4 v[36:39], v[36:37], off
	v_add_co_u32 v44, s0, v40, s2
	v_add_co_ci_u32_e64 v45, s0, s7, v41, s0
	v_add_co_u32 v48, s0, v44, s2
	v_add_co_ci_u32_e64 v49, s0, s7, v45, s0
	s_clause 0x1
	global_load_dwordx4 v[40:43], v[40:41], off
	global_load_dwordx4 v[44:47], v[44:45], off
	v_add_co_u32 v52, s0, v48, s2
	v_add_co_ci_u32_e64 v53, s0, s7, v49, s0
	global_load_dwordx4 v[48:51], v[48:49], off
	v_add_co_u32 v56, s0, v52, s2
	v_add_co_ci_u32_e64 v57, s0, s7, v53, s0
	;; [unrolled: 3-line block ×6, first 2 shown]
	s_clause 0x1
	global_load_dwordx4 v[68:71], v[72:73], off offset:768
	global_load_dwordx4 v[72:75], v[72:73], off offset:1632
	global_load_dwordx4 v[76:79], v[76:77], off
	global_load_dwordx4 v[80:83], v[80:81], off offset:448
	global_load_dwordx4 v[84:87], v[84:85], off
	s_waitcnt vmcnt(13)
	v_mul_f64 v[88:89], v[34:35], v[2:3]
	v_mul_f64 v[2:3], v[32:33], v[2:3]
	s_waitcnt vmcnt(12)
	v_mul_f64 v[90:91], v[38:39], v[6:7]
	v_mul_f64 v[6:7], v[36:37], v[6:7]
	;; [unrolled: 3-line block ×8, first 2 shown]
	v_fma_f64 v[30:31], v[32:33], v[0:1], v[88:89]
	v_fma_f64 v[32:33], v[34:35], v[0:1], -v[2:3]
	v_fma_f64 v[0:1], v[36:37], v[4:5], v[90:91]
	v_fma_f64 v[2:3], v[38:39], v[4:5], -v[6:7]
	s_waitcnt vmcnt(4)
	v_mul_f64 v[107:108], v[66:67], v[70:71]
	v_mul_f64 v[70:71], v[64:65], v[70:71]
	s_waitcnt vmcnt(2)
	v_mul_f64 v[109:110], v[78:79], v[74:75]
	v_mul_f64 v[74:75], v[76:77], v[74:75]
	;; [unrolled: 3-line block ×3, first 2 shown]
	v_fma_f64 v[4:5], v[40:41], v[8:9], v[92:93]
	v_fma_f64 v[6:7], v[42:43], v[8:9], -v[10:11]
	v_fma_f64 v[8:9], v[44:45], v[12:13], v[94:95]
	v_fma_f64 v[10:11], v[46:47], v[12:13], -v[14:15]
	;; [unrolled: 2-line block ×9, first 2 shown]
	ds_write_b128 v185, v[30:33]
	ds_write_b128 v185, v[0:3] offset:864
	ds_write_b128 v185, v[4:7] offset:1728
	;; [unrolled: 1-line block ×10, first 2 shown]
.LBB0_3:
	s_or_b32 exec_lo, exec_lo, s1
	s_clause 0x1
	s_load_dwordx2 s[0:1], s[4:5], 0x20
	s_load_dwordx2 s[2:3], s[4:5], 0x8
	s_waitcnt lgkmcnt(0)
	s_barrier
	buffer_gl0_inv
                                        ; implicit-def: $vgpr20_vgpr21
                                        ; implicit-def: $vgpr56_vgpr57
                                        ; implicit-def: $vgpr60_vgpr61
                                        ; implicit-def: $vgpr52_vgpr53
                                        ; implicit-def: $vgpr48_vgpr49
                                        ; implicit-def: $vgpr44_vgpr45
                                        ; implicit-def: $vgpr40_vgpr41
                                        ; implicit-def: $vgpr36_vgpr37
                                        ; implicit-def: $vgpr32_vgpr33
                                        ; implicit-def: $vgpr24_vgpr25
                                        ; implicit-def: $vgpr28_vgpr29
	s_and_saveexec_b32 s4, vcc_lo
	s_cbranch_execz .LBB0_5
; %bb.4:
	ds_read_b128 v[20:23], v185
	ds_read_b128 v[56:59], v185 offset:864
	ds_read_b128 v[60:63], v185 offset:1728
	;; [unrolled: 1-line block ×10, first 2 shown]
.LBB0_5:
	s_or_b32 exec_lo, exec_lo, s4
	s_waitcnt lgkmcnt(0)
	v_add_f64 v[0:1], v[58:59], -v[30:31]
	v_add_f64 v[2:3], v[56:57], -v[28:29]
	s_mov_b32 s22, 0xf8bb580b
	s_mov_b32 s23, 0xbfe14ced
	v_add_f64 v[72:73], v[56:57], v[28:29]
	v_add_f64 v[4:5], v[62:63], -v[26:27]
	v_add_f64 v[74:75], v[58:59], v[30:31]
	v_add_f64 v[6:7], v[60:61], -v[24:25]
	s_mov_b32 s6, 0x8764f0ba
	s_mov_b32 s20, 0x43842ef
	;; [unrolled: 1-line block ×10, first 2 shown]
	v_add_f64 v[68:69], v[60:61], v[24:25]
	v_add_f64 v[70:71], v[62:63], v[26:27]
	v_add_f64 v[8:9], v[54:55], -v[34:35]
	v_add_f64 v[10:11], v[52:53], -v[32:33]
	v_mul_f64 v[64:65], v[0:1], s[22:23]
	v_mul_f64 v[66:67], v[2:3], s[22:23]
	;; [unrolled: 1-line block ×12, first 2 shown]
	s_mov_b32 s4, 0xd9c712b6
	s_mov_b32 s8, 0x640f44db
	s_mov_b32 s10, 0x7f775887
	s_mov_b32 s16, 0x9bcd5057
	s_mov_b32 s5, 0x3fda9628
	s_mov_b32 s9, 0xbfc2375f
	s_mov_b32 s11, 0xbfe4f49e
	s_mov_b32 s17, 0xbfeeb42a
	s_mov_b32 s35, 0x3fd207e7
	s_mov_b32 s31, 0x3fefac9e
	v_fma_f64 v[103:104], v[72:73], s[6:7], v[64:65]
	v_fma_f64 v[115:116], v[74:75], s[6:7], -v[66:67]
	s_mov_b32 s29, 0x3fe14ced
	s_mov_b32 s34, s26
	;; [unrolled: 1-line block ×4, first 2 shown]
	v_add_f64 v[76:77], v[52:53], v[32:33]
	v_add_f64 v[78:79], v[54:55], v[34:35]
	v_mul_f64 v[97:98], v[8:9], s[20:21]
	v_mul_f64 v[99:100], v[10:11], s[20:21]
	v_fma_f64 v[125:126], v[68:69], s[4:5], v[88:89]
	v_fma_f64 v[127:128], v[70:71], s[4:5], -v[92:93]
	v_mul_f64 v[123:124], v[6:7], s[24:25]
	v_mul_f64 v[129:130], v[4:5], s[34:35]
	v_fma_f64 v[0:1], v[72:73], s[4:5], v[105:106]
	v_fma_f64 v[2:3], v[74:75], s[4:5], -v[107:108]
	v_mul_f64 v[133:134], v[6:7], s[34:35]
	v_mul_f64 v[131:132], v[4:5], s[30:31]
	;; [unrolled: 1-line block ×3, first 2 shown]
	v_fma_f64 v[143:144], v[72:73], s[8:9], v[109:110]
	v_fma_f64 v[145:146], v[74:75], s[8:9], -v[111:112]
	v_fma_f64 v[151:152], v[72:73], s[10:11], v[113:114]
	v_add_f64 v[137:138], v[20:21], v[103:104]
	v_add_f64 v[139:140], v[22:23], v[115:116]
	v_mul_f64 v[115:116], v[4:5], s[24:25]
	v_fma_f64 v[157:158], v[74:75], s[10:11], -v[117:118]
	v_mul_f64 v[155:156], v[4:5], s[28:29]
	v_mul_f64 v[161:162], v[6:7], s[28:29]
	v_fma_f64 v[4:5], v[72:73], s[16:17], v[135:136]
	v_fma_f64 v[6:7], v[74:75], s[16:17], -v[153:154]
	s_mov_b32 s19, 0x3fed1bb4
	v_add_f64 v[12:13], v[50:51], -v[38:39]
	v_add_f64 v[14:15], v[48:49], -v[36:37]
	v_mul_f64 v[119:120], v[8:9], s[34:35]
	v_mul_f64 v[121:122], v[10:11], s[34:35]
	v_fma_f64 v[147:148], v[76:77], s[8:9], v[97:98]
	v_fma_f64 v[149:150], v[78:79], s[8:9], -v[99:100]
	v_fma_f64 v[163:164], v[70:71], s[10:11], -v[123:124]
	v_add_f64 v[0:1], v[20:21], v[0:1]
	v_add_f64 v[2:3], v[22:23], v[2:3]
	v_fma_f64 v[165:166], v[68:69], s[16:17], v[129:130]
	v_fma_f64 v[167:168], v[70:71], s[16:17], -v[133:134]
	v_add_f64 v[143:144], v[20:21], v[143:144]
	v_add_f64 v[145:146], v[22:23], v[145:146]
	;; [unrolled: 1-line block ×4, first 2 shown]
	v_mul_f64 v[125:126], v[8:9], s[18:19]
	v_mul_f64 v[127:128], v[10:11], s[18:19]
	v_fma_f64 v[159:160], v[68:69], s[10:11], v[115:116]
	v_fma_f64 v[171:172], v[68:69], s[8:9], v[131:132]
	v_fma_f64 v[173:174], v[70:71], s[8:9], -v[141:142]
	v_add_f64 v[177:178], v[20:21], v[151:152]
	v_add_f64 v[179:180], v[22:23], v[157:158]
	v_mul_f64 v[151:152], v[8:9], s[22:23]
	v_mul_f64 v[157:158], v[10:11], s[22:23]
	v_add_f64 v[4:5], v[20:21], v[4:5]
	v_fma_f64 v[181:182], v[68:69], s[6:7], v[155:156]
	v_add_f64 v[6:7], v[22:23], v[6:7]
	v_fma_f64 v[183:184], v[70:71], s[6:7], -v[161:162]
	v_mul_f64 v[169:170], v[8:9], s[24:25]
	v_mul_f64 v[175:176], v[10:11], s[24:25]
	v_add_f64 v[82:83], v[48:49], v[36:37]
	v_add_f64 v[86:87], v[50:51], v[38:39]
	v_add_f64 v[16:17], v[46:47], -v[42:43]
	v_add_f64 v[18:19], v[44:45], -v[40:41]
	v_mul_f64 v[84:85], v[12:13], s[24:25]
	v_mul_f64 v[90:91], v[14:15], s[24:25]
	v_add_f64 v[191:192], v[147:148], v[137:138]
	v_add_f64 v[193:194], v[149:150], v[139:140]
	;; [unrolled: 1-line block ×4, first 2 shown]
	v_fma_f64 v[8:9], v[76:77], s[16:17], v[119:120]
	v_fma_f64 v[10:11], v[78:79], s[16:17], -v[121:122]
	v_mul_f64 v[137:138], v[12:13], s[30:31]
	v_mul_f64 v[139:140], v[14:15], s[30:31]
	v_add_f64 v[159:160], v[165:166], v[143:144]
	v_add_f64 v[163:164], v[167:168], v[145:146]
	v_fma_f64 v[195:196], v[76:77], s[4:5], v[125:126]
	v_fma_f64 v[197:198], v[78:79], s[4:5], -v[127:128]
	v_mul_f64 v[147:148], v[12:13], s[22:23]
	v_mul_f64 v[149:150], v[14:15], s[22:23]
	v_add_f64 v[171:172], v[171:172], v[177:178]
	v_add_f64 v[173:174], v[173:174], v[179:180]
	;; [unrolled: 6-line block ×4, first 2 shown]
	v_mul_f64 v[80:81], v[16:17], s[26:27]
	v_mul_f64 v[103:104], v[18:19], s[26:27]
	v_fma_f64 v[187:188], v[82:83], s[10:11], v[84:85]
	v_fma_f64 v[189:190], v[86:87], s[10:11], -v[90:91]
	v_add_f64 v[0:1], v[8:9], v[0:1]
	v_add_f64 v[2:3], v[10:11], v[2:3]
	v_fma_f64 v[8:9], v[82:83], s[8:9], v[137:138]
	v_fma_f64 v[10:11], v[86:87], s[8:9], -v[139:140]
	v_mul_f64 v[143:144], v[16:17], s[28:29]
	v_mul_f64 v[145:146], v[18:19], s[28:29]
	v_add_f64 v[12:13], v[195:196], v[159:160]
	v_add_f64 v[14:15], v[197:198], v[163:164]
	v_fma_f64 v[195:196], v[82:83], s[6:7], v[147:148]
	v_fma_f64 v[197:198], v[86:87], s[6:7], -v[149:150]
	v_mul_f64 v[159:160], v[16:17], s[24:25]
	v_mul_f64 v[163:164], v[18:19], s[24:25]
	;; [unrolled: 6-line block ×4, first 2 shown]
	v_add_f64 v[16:17], v[187:188], v[191:192]
	v_add_f64 v[18:19], v[189:190], v[193:194]
	v_fma_f64 v[187:188], v[94:95], s[16:17], v[80:81]
	v_fma_f64 v[189:190], v[101:102], s[16:17], -v[103:104]
	v_add_f64 v[8:9], v[8:9], v[0:1]
	v_add_f64 v[10:11], v[10:11], v[2:3]
	v_fma_f64 v[191:192], v[94:95], s[6:7], v[143:144]
	v_fma_f64 v[193:194], v[101:102], s[6:7], -v[145:146]
	;; [unrolled: 4-line block ×4, first 2 shown]
	s_barrier
	v_add_f64 v[207:208], v[207:208], v[4:5]
	v_add_f64 v[209:210], v[209:210], v[6:7]
	v_fma_f64 v[211:212], v[94:95], s[8:9], v[181:182]
	v_fma_f64 v[213:214], v[101:102], s[8:9], -v[183:184]
	buffer_gl0_inv
	v_add_f64 v[0:1], v[187:188], v[16:17]
	v_add_f64 v[2:3], v[189:190], v[18:19]
	v_mul_lo_u16 v187, v186, 11
	v_add_f64 v[4:5], v[191:192], v[8:9]
	v_add_f64 v[6:7], v[193:194], v[10:11]
	;; [unrolled: 1-line block ×8, first 2 shown]
	s_and_saveexec_b32 s18, vcc_lo
	s_cbranch_execz .LBB0_7
; %bb.6:
	v_add_f64 v[58:59], v[22:23], v[58:59]
	v_add_f64 v[56:57], v[20:21], v[56:57]
	v_mul_f64 v[188:189], v[72:73], s[10:11]
	v_mul_f64 v[190:191], v[72:73], s[16:17]
	;; [unrolled: 1-line block ×20, first 2 shown]
	v_add_f64 v[58:59], v[58:59], v[62:63]
	v_add_f64 v[56:57], v[56:57], v[60:61]
	v_mul_f64 v[60:61], v[74:75], s[16:17]
	v_mul_f64 v[62:63], v[74:75], s[4:5]
	;; [unrolled: 1-line block ×3, first 2 shown]
	v_add_f64 v[135:136], v[190:191], -v[135:136]
	v_add_f64 v[117:118], v[117:118], v[192:193]
	v_add_f64 v[111:112], v[111:112], v[194:195]
	v_add_f64 v[64:65], v[72:73], -v[64:65]
	v_add_f64 v[72:73], v[198:199], -v[105:106]
	;; [unrolled: 1-line block ×3, first 2 shown]
	v_mul_f64 v[222:223], v[78:79], s[8:9]
	v_mul_f64 v[226:227], v[78:79], s[16:17]
	;; [unrolled: 1-line block ×3, first 2 shown]
	v_add_f64 v[113:114], v[123:124], v[206:207]
	v_add_f64 v[70:71], v[133:134], v[70:71]
	;; [unrolled: 1-line block ×3, first 2 shown]
	v_add_f64 v[88:89], v[200:201], -v[88:89]
	v_mul_f64 v[224:225], v[76:77], s[16:17]
	v_add_f64 v[115:116], v[204:205], -v[115:116]
	v_add_f64 v[68:69], v[68:69], -v[131:132]
	v_mul_f64 v[228:229], v[82:83], s[10:11]
	v_add_f64 v[54:55], v[58:59], v[54:55]
	v_add_f64 v[52:53], v[56:57], v[52:53]
	;; [unrolled: 1-line block ×5, first 2 shown]
	v_add_f64 v[74:75], v[196:197], -v[109:110]
	v_mul_f64 v[56:57], v[76:77], s[10:11]
	v_add_f64 v[107:108], v[141:142], v[210:211]
	v_add_f64 v[123:124], v[20:21], v[135:136]
	;; [unrolled: 1-line block ×5, first 2 shown]
	v_mul_f64 v[58:59], v[76:77], s[6:7]
	v_mul_f64 v[76:77], v[76:77], s[4:5]
	v_add_f64 v[109:110], v[208:209], -v[129:130]
	v_mul_f64 v[230:231], v[86:87], s[10:11]
	v_mul_f64 v[232:233], v[82:83], s[8:9]
	;; [unrolled: 1-line block ×7, first 2 shown]
	v_add_f64 v[50:51], v[54:55], v[50:51]
	v_add_f64 v[48:49], v[52:53], v[48:49]
	;; [unrolled: 1-line block ×8, first 2 shown]
	v_mul_f64 v[82:83], v[82:83], s[4:5]
	v_mul_f64 v[86:87], v[86:87], s[4:5]
	v_add_f64 v[74:75], v[127:128], v[78:79]
	v_add_f64 v[78:79], v[121:122], v[226:227]
	v_add_f64 v[99:100], v[99:100], v[222:223]
	v_add_f64 v[97:98], v[220:221], -v[97:98]
	v_add_f64 v[70:71], v[70:71], v[111:112]
	v_add_f64 v[64:65], v[88:89], v[64:65]
	v_add_f64 v[105:106], v[224:225], -v[119:120]
	v_add_f64 v[76:77], v[76:77], -v[125:126]
	;; [unrolled: 1-line block ×3, first 2 shown]
	v_mul_f64 v[52:53], v[94:95], s[16:17]
	v_mul_f64 v[54:55], v[101:102], s[16:17]
	;; [unrolled: 1-line block ×3, first 2 shown]
	v_add_f64 v[46:47], v[50:51], v[46:47]
	v_add_f64 v[44:45], v[48:49], v[44:45]
	;; [unrolled: 1-line block ×3, first 2 shown]
	v_add_f64 v[50:51], v[212:213], -v[155:156]
	v_add_f64 v[62:63], v[113:114], v[62:63]
	v_add_f64 v[22:23], v[92:93], v[22:23]
	;; [unrolled: 1-line block ×5, first 2 shown]
	v_mul_f64 v[246:247], v[101:102], s[6:7]
	v_mul_f64 v[248:249], v[94:95], s[10:11]
	v_mul_f64 v[250:251], v[101:102], s[10:11]
	v_mul_f64 v[252:253], v[94:95], s[4:5]
	v_mul_f64 v[153:154], v[101:102], s[4:5]
	v_mul_f64 v[94:95], v[94:95], s[8:9]
	v_mul_f64 v[101:102], v[101:102], s[8:9]
	v_add_f64 v[68:69], v[167:168], v[242:243]
	v_add_f64 v[92:93], v[139:140], v[234:235]
	;; [unrolled: 1-line block ×3, first 2 shown]
	v_add_f64 v[84:85], v[228:229], -v[84:85]
	v_add_f64 v[88:89], v[236:237], -v[147:148]
	v_add_f64 v[54:55], v[103:104], v[54:55]
	v_add_f64 v[42:43], v[46:47], v[42:43]
	;; [unrolled: 1-line block ×4, first 2 shown]
	v_add_f64 v[46:47], v[56:57], -v[169:170]
	v_add_f64 v[56:57], v[157:158], v[218:219]
	v_add_f64 v[48:49], v[48:49], v[60:61]
	;; [unrolled: 1-line block ×5, first 2 shown]
	v_add_f64 v[107:108], v[232:233], -v[137:138]
	v_add_f64 v[20:21], v[58:59], v[20:21]
	v_add_f64 v[52:53], v[52:53], -v[80:81]
	v_add_f64 v[58:59], v[173:174], v[153:154]
	v_add_f64 v[38:39], v[42:43], v[38:39]
	;; [unrolled: 1-line block ×4, first 2 shown]
	v_add_f64 v[42:43], v[82:83], -v[177:178]
	v_add_f64 v[86:87], v[149:150], v[238:239]
	v_add_f64 v[44:45], v[44:45], v[48:49]
	;; [unrolled: 1-line block ×9, first 2 shown]
	v_add_f64 v[82:83], v[240:241], -v[165:166]
	v_add_f64 v[74:75], v[145:146], v[246:247]
	v_add_f64 v[76:77], v[244:245], -v[143:144]
	v_add_f64 v[70:71], v[163:164], v[250:251]
	v_add_f64 v[72:73], v[248:249], -v[159:160]
	v_add_f64 v[66:67], v[252:253], -v[171:172]
	v_add_f64 v[34:35], v[38:39], v[34:35]
	v_add_f64 v[32:33], v[36:37], v[32:33]
	;; [unrolled: 1-line block ×3, first 2 shown]
	v_add_f64 v[38:39], v[94:95], -v[181:182]
	v_add_f64 v[40:41], v[40:41], v[44:45]
	v_add_f64 v[42:43], v[42:43], v[46:47]
	;; [unrolled: 1-line block ×22, first 2 shown]
	v_mov_b32_e32 v44, 4
	v_lshlrev_b32_sdwa v44, v44, v187 dst_sel:DWORD dst_unused:UNUSED_PAD src0_sel:DWORD src1_sel:WORD_0
	v_add_f64 v[30:31], v[68:69], v[30:31]
	v_add_f64 v[28:29], v[78:79], v[28:29]
	ds_write_b128 v44, v[16:19] offset:96
	ds_write_b128 v44, v[12:15] offset:112
	;; [unrolled: 1-line block ×9, first 2 shown]
	ds_write_b128 v44, v[28:31]
	ds_write_b128 v44, v[0:3] offset:160
.LBB0_7:
	s_or_b32 exec_lo, exec_lo, s18
	v_add_co_u32 v56, null, 0x63, v186
	v_and_b32_e32 v81, 0xff, v186
	s_load_dwordx4 s[4:7], s[0:1], 0x0
	s_waitcnt lgkmcnt(0)
	v_and_b32_e32 v20, 0xff, v56
	s_barrier
	v_mul_lo_u16 v21, 0x75, v81
	buffer_gl0_inv
	v_mov_b32_e32 v36, 4
	v_mul_lo_u16 v20, 0x75, v20
	s_mov_b32 s8, 0xe8584caa
	v_lshrrev_b16 v21, 8, v21
	s_mov_b32 s9, 0x3febb67a
	v_lshlrev_b32_sdwa v107, v36, v186 dst_sel:DWORD dst_unused:UNUSED_PAD src0_sel:DWORD src1_sel:WORD_0
	v_lshrrev_b16 v20, 8, v20
	s_mov_b32 s11, 0xbfebb67a
	v_sub_nc_u16 v22, v186, v21
	s_mov_b32 s10, s8
	v_lshlrev_b32_e32 v102, 5, v186
	v_sub_nc_u16 v23, v56, v20
	v_lshrrev_b16 v22, 1, v22
	v_lshrrev_b16 v23, 1, v23
	v_and_b32_e32 v22, 0x7f, v22
	v_and_b32_e32 v23, 0x7f, v23
	v_add_nc_u16 v21, v22, v21
	v_add_nc_u16 v20, v23, v20
	v_lshrrev_b16 v82, 3, v21
	v_lshrrev_b16 v83, 3, v20
	v_mul_lo_u16 v20, v82, 11
	v_mul_lo_u16 v21, v83, 11
	v_sub_nc_u16 v20, v186, v20
	v_sub_nc_u16 v21, v56, v21
	v_and_b32_e32 v84, 0xff, v20
	v_and_b32_e32 v85, 0xff, v21
	v_lshlrev_b32_e32 v20, 5, v84
	v_lshlrev_b32_e32 v28, 5, v85
	s_clause 0x3
	global_load_dwordx4 v[24:27], v20, s[2:3]
	global_load_dwordx4 v[20:23], v20, s[2:3] offset:16
	global_load_dwordx4 v[32:35], v28, s[2:3]
	global_load_dwordx4 v[28:31], v28, s[2:3] offset:16
	ds_read_b128 v[36:39], v107 offset:3168
	ds_read_b128 v[40:43], v107 offset:6336
	;; [unrolled: 1-line block ×4, first 2 shown]
	s_waitcnt vmcnt(3) lgkmcnt(3)
	v_mul_f64 v[52:53], v[38:39], v[26:27]
	s_waitcnt vmcnt(2) lgkmcnt(2)
	v_mul_f64 v[54:55], v[42:43], v[22:23]
	v_mul_f64 v[57:58], v[36:37], v[26:27]
	;; [unrolled: 1-line block ×3, first 2 shown]
	s_waitcnt vmcnt(1) lgkmcnt(1)
	v_mul_f64 v[61:62], v[46:47], v[34:35]
	s_waitcnt vmcnt(0) lgkmcnt(0)
	v_mul_f64 v[63:64], v[50:51], v[30:31]
	v_mul_f64 v[65:66], v[44:45], v[34:35]
	;; [unrolled: 1-line block ×3, first 2 shown]
	v_fma_f64 v[52:53], v[36:37], v[24:25], -v[52:53]
	v_fma_f64 v[54:55], v[40:41], v[20:21], -v[54:55]
	v_fma_f64 v[57:58], v[38:39], v[24:25], v[57:58]
	v_fma_f64 v[59:60], v[42:43], v[20:21], v[59:60]
	v_fma_f64 v[44:45], v[44:45], v[32:33], -v[61:62]
	v_fma_f64 v[48:49], v[48:49], v[28:29], -v[63:64]
	v_fma_f64 v[46:47], v[46:47], v[32:33], v[65:66]
	v_fma_f64 v[50:51], v[50:51], v[28:29], v[67:68]
	ds_read_b128 v[36:39], v107
	ds_read_b128 v[40:43], v107 offset:1584
	s_waitcnt lgkmcnt(0)
	s_barrier
	buffer_gl0_inv
	v_add_f64 v[61:62], v[52:53], v[54:55]
	v_add_f64 v[63:64], v[57:58], v[59:60]
	v_add_f64 v[71:72], v[57:58], -v[59:60]
	v_add_f64 v[65:66], v[44:45], v[48:49]
	v_add_f64 v[69:70], v[36:37], v[52:53]
	;; [unrolled: 1-line block ×4, first 2 shown]
	v_add_f64 v[52:53], v[52:53], -v[54:55]
	v_add_f64 v[73:74], v[40:41], v[44:45]
	v_add_f64 v[75:76], v[42:43], v[46:47]
	v_add_f64 v[77:78], v[46:47], -v[50:51]
	v_add_f64 v[79:80], v[44:45], -v[48:49]
	v_fma_f64 v[61:62], v[61:62], -0.5, v[36:37]
	v_mul_lo_u16 v36, 0xf9, v81
	v_fma_f64 v[63:64], v[63:64], -0.5, v[38:39]
	v_fma_f64 v[65:66], v[65:66], -0.5, v[40:41]
	;; [unrolled: 1-line block ×3, first 2 shown]
	v_lshrrev_b16 v95, 13, v36
	v_add_f64 v[36:37], v[69:70], v[54:55]
	v_add_f64 v[38:39], v[57:58], v[59:60]
	;; [unrolled: 1-line block ×4, first 2 shown]
	v_mul_lo_u16 v81, v95, 33
	v_fma_f64 v[44:45], v[71:72], s[8:9], v[61:62]
	v_fma_f64 v[48:49], v[71:72], s[10:11], v[61:62]
	;; [unrolled: 1-line block ×5, first 2 shown]
	v_sub_nc_u16 v61, v186, v81
	v_fma_f64 v[54:55], v[79:80], s[10:11], v[67:68]
	v_fma_f64 v[57:58], v[77:78], s[10:11], v[65:66]
	;; [unrolled: 1-line block ×3, first 2 shown]
	v_mov_b32_e32 v62, 33
	v_and_b32_e32 v101, 0xff, v61
	v_mul_u32_u24_sdwa v63, v82, v62 dst_sel:DWORD dst_unused:UNUSED_PAD src0_sel:WORD_0 src1_sel:DWORD
	v_mul_u32_u24_sdwa v64, v83, v62 dst_sel:DWORD dst_unused:UNUSED_PAD src0_sel:WORD_0 src1_sel:DWORD
	v_mad_u64_u32 v[61:62], null, 0x50, v101, s[2:3]
	v_add_lshl_u32 v109, v63, v84, 4
	v_add_lshl_u32 v108, v64, v85, 4
	ds_write_b128 v109, v[36:39]
	ds_write_b128 v109, v[44:47] offset:176
	ds_write_b128 v109, v[48:51] offset:352
	ds_write_b128 v108, v[40:43]
	ds_write_b128 v108, v[52:55] offset:176
	ds_write_b128 v108, v[57:60] offset:352
	s_waitcnt lgkmcnt(0)
	s_barrier
	buffer_gl0_inv
	s_clause 0x4
	global_load_dwordx4 v[36:39], v[61:62], off offset:384
	global_load_dwordx4 v[52:55], v[61:62], off offset:416
	;; [unrolled: 1-line block ×5, first 2 shown]
	ds_read_b128 v[57:60], v107 offset:4752
	ds_read_b128 v[61:64], v107 offset:7920
	;; [unrolled: 1-line block ×5, first 2 shown]
	s_waitcnt vmcnt(4) lgkmcnt(4)
	v_mul_f64 v[77:78], v[59:60], v[38:39]
	v_mul_f64 v[79:80], v[57:58], v[38:39]
	s_waitcnt vmcnt(3) lgkmcnt(3)
	v_mul_f64 v[81:82], v[61:62], v[54:55]
	v_mul_f64 v[83:84], v[63:64], v[54:55]
	s_waitcnt vmcnt(2) lgkmcnt(2)
	v_mul_f64 v[85:86], v[67:68], v[42:43]
	v_mul_f64 v[87:88], v[65:66], v[42:43]
	v_fma_f64 v[77:78], v[57:58], v[36:37], -v[77:78]
	v_fma_f64 v[79:80], v[59:60], v[36:37], v[79:80]
	v_fma_f64 v[63:64], v[63:64], v[52:53], v[81:82]
	v_fma_f64 v[61:62], v[61:62], v[52:53], -v[83:84]
	s_waitcnt vmcnt(1) lgkmcnt(1)
	v_mul_f64 v[57:58], v[71:72], v[50:51]
	v_mul_f64 v[59:60], v[69:70], v[50:51]
	s_waitcnt vmcnt(0) lgkmcnt(0)
	v_mul_f64 v[81:82], v[75:76], v[46:47]
	v_mul_f64 v[83:84], v[73:74], v[46:47]
	v_fma_f64 v[65:66], v[65:66], v[40:41], -v[85:86]
	v_fma_f64 v[67:68], v[67:68], v[40:41], v[87:88]
	v_add_f64 v[85:86], v[79:80], v[63:64]
	v_add_f64 v[87:88], v[77:78], v[61:62]
	v_fma_f64 v[69:70], v[69:70], v[48:49], -v[57:58]
	v_fma_f64 v[71:72], v[71:72], v[48:49], v[59:60]
	v_fma_f64 v[73:74], v[73:74], v[44:45], -v[81:82]
	v_fma_f64 v[75:76], v[75:76], v[44:45], v[83:84]
	v_add_f64 v[81:82], v[79:80], -v[63:64]
	v_add_f64 v[83:84], v[77:78], -v[61:62]
	ds_read_b128 v[57:60], v107
	s_waitcnt lgkmcnt(0)
	s_barrier
	buffer_gl0_inv
	v_fma_f64 v[85:86], v[85:86], -0.5, v[67:68]
	v_fma_f64 v[87:88], v[87:88], -0.5, v[65:66]
	v_add_f64 v[65:66], v[65:66], v[77:78]
	v_add_f64 v[67:68], v[67:68], v[79:80]
	;; [unrolled: 1-line block ×4, first 2 shown]
	v_fma_f64 v[93:94], v[83:84], s[10:11], v[85:86]
	v_fma_f64 v[97:98], v[81:82], s[10:11], v[87:88]
	;; [unrolled: 1-line block ×4, first 2 shown]
	v_add_f64 v[85:86], v[57:58], v[69:70]
	v_add_f64 v[87:88], v[71:72], -v[75:76]
	v_add_f64 v[71:72], v[59:60], v[71:72]
	v_fma_f64 v[57:58], v[89:90], -0.5, v[57:58]
	v_add_f64 v[69:70], v[69:70], -v[73:74]
	v_fma_f64 v[59:60], v[91:92], -0.5, v[59:60]
	v_add_f64 v[61:62], v[65:66], v[61:62]
	v_add_f64 v[63:64], v[67:68], v[63:64]
	v_mul_f64 v[77:78], v[93:94], s[8:9]
	v_mul_f64 v[79:80], v[97:98], -0.5
	v_mul_f64 v[89:90], v[81:82], s[10:11]
	v_mul_f64 v[91:92], v[83:84], -0.5
	v_add_f64 v[73:74], v[85:86], v[73:74]
	v_add_f64 v[71:72], v[71:72], v[75:76]
	v_fma_f64 v[75:76], v[87:88], s[8:9], v[57:58]
	v_fma_f64 v[85:86], v[87:88], s[10:11], v[57:58]
	;; [unrolled: 1-line block ×4, first 2 shown]
	v_add_co_u32 v57, s0, s2, v102
	v_add_co_ci_u32_e64 v58, null, s3, 0, s0
	v_fma_f64 v[77:78], v[81:82], 0.5, v[77:78]
	v_fma_f64 v[79:80], v[83:84], s[8:9], v[79:80]
	v_fma_f64 v[81:82], v[93:94], 0.5, v[89:90]
	v_fma_f64 v[83:84], v[97:98], s[10:11], v[91:92]
	v_add_co_u32 v89, s0, 0xbb0, v57
	v_add_co_ci_u32_e64 v90, s0, 0, v58, s0
	v_add_co_u32 v91, s0, 0x800, v57
	v_lshlrev_b32_e32 v94, 5, v56
	v_add_co_ci_u32_e64 v92, s0, 0, v58, s0
	v_add_f64 v[56:57], v[73:74], v[61:62]
	v_add_f64 v[58:59], v[71:72], v[63:64]
	v_add_f64 v[60:61], v[73:74], -v[61:62]
	v_add_f64 v[62:63], v[71:72], -v[63:64]
	v_mov_b32_e32 v93, 0xc6
	v_add_f64 v[64:65], v[75:76], v[77:78]
	v_add_f64 v[68:69], v[85:86], v[79:80]
	;; [unrolled: 1-line block ×4, first 2 shown]
	v_add_f64 v[72:73], v[75:76], -v[77:78]
	v_add_f64 v[74:75], v[87:88], -v[81:82]
	;; [unrolled: 1-line block ×4, first 2 shown]
	v_add_co_u32 v82, s0, s2, v94
	v_add_co_ci_u32_e64 v83, null, s3, 0, s0
	v_mul_u32_u24_sdwa v84, v95, v93 dst_sel:DWORD dst_unused:UNUSED_PAD src0_sel:WORD_0 src1_sel:DWORD
	v_add_co_u32 v80, s0, 0xbb0, v82
	v_add_co_ci_u32_e64 v81, s0, 0, v83, s0
	v_add_lshl_u32 v110, v84, v101, 4
	v_add_co_u32 v82, s0, 0x800, v82
	v_add_co_ci_u32_e64 v83, s0, 0, v83, s0
	ds_write_b128 v110, v[56:59]
	ds_write_b128 v110, v[60:63] offset:1584
	ds_write_b128 v110, v[64:67] offset:528
	;; [unrolled: 1-line block ×5, first 2 shown]
	s_waitcnt lgkmcnt(0)
	s_barrier
	buffer_gl0_inv
	s_clause 0x3
	global_load_dwordx4 v[56:59], v[91:92], off offset:944
	global_load_dwordx4 v[60:63], v[89:90], off offset:16
	;; [unrolled: 1-line block ×4, first 2 shown]
	ds_read_b128 v[72:75], v107 offset:3168
	ds_read_b128 v[76:79], v107 offset:6336
	;; [unrolled: 1-line block ×4, first 2 shown]
	s_waitcnt vmcnt(3) lgkmcnt(3)
	v_mul_f64 v[88:89], v[74:75], v[58:59]
	s_waitcnt vmcnt(2) lgkmcnt(2)
	v_mul_f64 v[90:91], v[78:79], v[62:63]
	v_mul_f64 v[92:93], v[72:73], v[58:59]
	v_mul_f64 v[94:95], v[76:77], v[62:63]
	s_waitcnt vmcnt(1) lgkmcnt(1)
	v_mul_f64 v[97:98], v[82:83], v[66:67]
	s_waitcnt vmcnt(0) lgkmcnt(0)
	v_mul_f64 v[99:100], v[86:87], v[70:71]
	v_mul_f64 v[101:102], v[80:81], v[66:67]
	v_mul_f64 v[103:104], v[84:85], v[70:71]
	v_fma_f64 v[88:89], v[72:73], v[56:57], -v[88:89]
	v_fma_f64 v[90:91], v[76:77], v[60:61], -v[90:91]
	v_fma_f64 v[92:93], v[74:75], v[56:57], v[92:93]
	v_fma_f64 v[94:95], v[78:79], v[60:61], v[94:95]
	v_fma_f64 v[80:81], v[80:81], v[64:65], -v[97:98]
	v_fma_f64 v[84:85], v[84:85], v[68:69], -v[99:100]
	v_fma_f64 v[82:83], v[82:83], v[64:65], v[101:102]
	v_fma_f64 v[86:87], v[86:87], v[68:69], v[103:104]
	ds_read_b128 v[72:75], v107
	ds_read_b128 v[76:79], v107 offset:1584
	v_add_f64 v[97:98], v[88:89], v[90:91]
	v_add_f64 v[117:118], v[88:89], -v[90:91]
	v_add_f64 v[99:100], v[92:93], v[94:95]
	v_add_f64 v[111:112], v[92:93], -v[94:95]
	v_add_f64 v[101:102], v[80:81], v[84:85]
	s_waitcnt lgkmcnt(1)
	v_add_f64 v[105:106], v[72:73], v[88:89]
	v_add_f64 v[103:104], v[82:83], v[86:87]
	;; [unrolled: 1-line block ×3, first 2 shown]
	s_waitcnt lgkmcnt(0)
	v_add_f64 v[113:114], v[76:77], v[80:81]
	v_add_f64 v[115:116], v[78:79], v[82:83]
	v_add_f64 v[82:83], v[82:83], -v[86:87]
	v_fma_f64 v[97:98], v[97:98], -0.5, v[72:73]
	v_fma_f64 v[99:100], v[99:100], -0.5, v[74:75]
	;; [unrolled: 1-line block ×3, first 2 shown]
	v_add_f64 v[101:102], v[80:81], -v[84:85]
	v_fma_f64 v[78:79], v[103:104], -0.5, v[78:79]
	v_add_f64 v[72:73], v[105:106], v[90:91]
	v_add_f64 v[74:75], v[92:93], v[94:95]
	;; [unrolled: 1-line block ×4, first 2 shown]
	v_fma_f64 v[92:93], v[111:112], s[8:9], v[97:98]
	v_fma_f64 v[88:89], v[111:112], s[10:11], v[97:98]
	v_fma_f64 v[94:95], v[117:118], s[10:11], v[99:100]
	v_fma_f64 v[90:91], v[117:118], s[8:9], v[99:100]
	v_fma_f64 v[80:81], v[82:83], s[8:9], v[76:77]
	v_fma_f64 v[76:77], v[82:83], s[10:11], v[76:77]
	v_fma_f64 v[82:83], v[101:102], s[10:11], v[78:79]
	v_fma_f64 v[78:79], v[101:102], s[8:9], v[78:79]
	ds_write_b128 v107, v[72:75]
	ds_write_b128 v107, v[84:87] offset:1584
	ds_write_b128 v107, v[92:95] offset:3168
	;; [unrolled: 1-line block ×5, first 2 shown]
	s_waitcnt lgkmcnt(0)
	s_barrier
	buffer_gl0_inv
	s_and_saveexec_b32 s8, vcc_lo
	s_cbranch_execz .LBB0_9
; %bb.8:
	v_add_co_u32 v101, s0, s14, v185
	v_add_co_ci_u32_e64 v127, null, s15, 0, s0
	v_add_co_u32 v97, s0, 0x2000, v101
	v_add_co_ci_u32_e64 v98, s0, 0, v127, s0
	v_add_co_u32 v105, s0, 0x2520, v101
	v_add_co_ci_u32_e64 v106, s0, 0, v127, s0
	global_load_dwordx4 v[97:100], v[97:98], off offset:1312
	v_add_co_u32 v115, s1, 0x2800, v101
	v_add_co_u32 v123, s2, 0x3000, v101
	v_add_co_ci_u32_e64 v116, s1, 0, v127, s1
	v_add_co_ci_u32_e64 v124, s1, 0, v127, s2
	v_add_co_u32 v131, s3, 0x3800, v101
	v_add_co_u32 v143, s0, 0x4000, v101
	s_clause 0x2
	global_load_dwordx4 v[101:104], v[105:106], off offset:864
	global_load_dwordx4 v[111:114], v[105:106], off offset:1728
	global_load_dwordx4 v[115:118], v[115:116], off offset:1856
	v_add_co_ci_u32_e64 v132, s1, 0, v127, s3
	s_clause 0x1
	global_load_dwordx4 v[119:122], v[123:124], off offset:672
	global_load_dwordx4 v[123:126], v[123:124], off offset:1536
	v_add_co_ci_u32_e64 v144, s0, 0, v127, s0
	s_clause 0x4
	global_load_dwordx4 v[127:130], v[131:132], off offset:352
	global_load_dwordx4 v[131:134], v[131:132], off offset:1216
	;; [unrolled: 1-line block ×5, first 2 shown]
	ds_read_b128 v[147:150], v107
	s_waitcnt vmcnt(10) lgkmcnt(0)
	v_mul_f64 v[105:106], v[149:150], v[99:100]
	v_mul_f64 v[99:100], v[147:148], v[99:100]
	v_fma_f64 v[147:148], v[147:148], v[97:98], -v[105:106]
	v_fma_f64 v[149:150], v[149:150], v[97:98], v[99:100]
	ds_write_b128 v107, v[147:150]
	ds_read_b128 v[97:100], v185 offset:864
	ds_read_b128 v[147:150], v185 offset:1728
	;; [unrolled: 1-line block ×10, first 2 shown]
	s_waitcnt vmcnt(9) lgkmcnt(9)
	v_mul_f64 v[105:106], v[99:100], v[103:104]
	v_mul_f64 v[103:104], v[97:98], v[103:104]
	s_waitcnt vmcnt(8) lgkmcnt(8)
	v_mul_f64 v[183:184], v[149:150], v[113:114]
	v_mul_f64 v[113:114], v[147:148], v[113:114]
	;; [unrolled: 3-line block ×10, first 2 shown]
	v_fma_f64 v[97:98], v[97:98], v[101:102], -v[105:106]
	v_fma_f64 v[99:100], v[99:100], v[101:102], v[103:104]
	v_fma_f64 v[101:102], v[147:148], v[111:112], -v[183:184]
	v_fma_f64 v[103:104], v[149:150], v[111:112], v[113:114]
	;; [unrolled: 2-line block ×10, first 2 shown]
	ds_write_b128 v185, v[97:100] offset:864
	ds_write_b128 v185, v[101:104] offset:1728
	ds_write_b128 v185, v[111:114] offset:2592
	ds_write_b128 v185, v[115:118] offset:3456
	ds_write_b128 v185, v[119:122] offset:4320
	ds_write_b128 v185, v[123:126] offset:5184
	ds_write_b128 v185, v[127:130] offset:6048
	ds_write_b128 v185, v[131:134] offset:6912
	ds_write_b128 v185, v[135:138] offset:7776
	ds_write_b128 v185, v[139:142] offset:8640
.LBB0_9:
	s_or_b32 exec_lo, exec_lo, s8
	s_waitcnt lgkmcnt(0)
	s_barrier
	buffer_gl0_inv
	s_and_saveexec_b32 s0, vcc_lo
	s_cbranch_execz .LBB0_11
; %bb.10:
	ds_read_b128 v[72:75], v107
	ds_read_b128 v[92:95], v107 offset:864
	ds_read_b128 v[88:91], v107 offset:1728
	;; [unrolled: 1-line block ×10, first 2 shown]
.LBB0_11:
	s_or_b32 exec_lo, exec_lo, s0
	s_waitcnt lgkmcnt(0)
	s_barrier
	buffer_gl0_inv
	s_and_saveexec_b32 s33, vcc_lo
	s_cbranch_execz .LBB0_13
; %bb.12:
	v_add_f64 v[111:112], v[92:93], -v[0:1]
	v_add_f64 v[113:114], v[94:95], -v[2:3]
	s_mov_b32 s16, 0xfd768dbf
	s_mov_b32 s17, 0xbfd207e7
	v_add_f64 v[117:118], v[88:89], -v[4:5]
	v_add_f64 v[119:120], v[94:95], v[2:3]
	v_add_f64 v[121:122], v[90:91], -v[6:7]
	v_add_f64 v[123:124], v[92:93], v[0:1]
	s_mov_b32 s22, 0xbb3a28a1
	s_mov_b32 s18, 0xf8bb580b
	;; [unrolled: 1-line block ×6, first 2 shown]
	v_add_f64 v[129:130], v[84:85], -v[8:9]
	v_add_f64 v[133:134], v[90:91], v[6:7]
	v_add_f64 v[137:138], v[86:87], -v[10:11]
	v_add_f64 v[139:140], v[88:89], v[4:5]
	s_mov_b32 s24, 0x43842ef
	s_mov_b32 s10, 0x7f775887
	;; [unrolled: 1-line block ×4, first 2 shown]
	v_mul_f64 v[125:126], v[111:112], s[16:17]
	v_mul_f64 v[127:128], v[113:114], s[16:17]
	;; [unrolled: 1-line block ×3, first 2 shown]
	s_mov_b32 s11, 0xbfe4f49e
	v_mul_f64 v[141:142], v[117:118], s[18:19]
	s_mov_b32 s3, 0x3feaeb8c
	v_mul_f64 v[143:144], v[121:122], s[18:19]
	s_mov_b32 s29, 0x3fefac9e
	s_mov_b32 s28, s24
	v_add_f64 v[115:116], v[80:81], -v[12:13]
	v_add_f64 v[131:132], v[86:87], v[10:11]
	v_add_f64 v[149:150], v[82:83], -v[14:15]
	v_add_f64 v[151:152], v[84:85], v[8:9]
	v_mul_f64 v[161:162], v[113:114], s[22:23]
	v_mul_f64 v[157:158], v[129:130], s[22:23]
	;; [unrolled: 1-line block ×6, first 2 shown]
	s_mov_b32 s8, 0x640f44db
	s_mov_b32 s9, 0xbfc2375f
	;; [unrolled: 1-line block ×3, first 2 shown]
	v_fma_f64 v[145:146], v[119:120], s[0:1], v[125:126]
	v_fma_f64 v[147:148], v[123:124], s[0:1], -v[127:128]
	v_fma_f64 v[125:126], v[119:120], s[0:1], -v[125:126]
	v_fma_f64 v[127:128], v[123:124], s[0:1], v[127:128]
	v_fma_f64 v[163:164], v[133:134], s[2:3], v[141:142]
	v_fma_f64 v[141:142], v[133:134], s[2:3], -v[141:142]
	v_fma_f64 v[165:166], v[139:140], s[2:3], -v[143:144]
	v_fma_f64 v[143:144], v[139:140], s[2:3], v[143:144]
	v_fma_f64 v[183:184], v[119:120], s[10:11], v[153:154]
	s_mov_b32 s26, 0x8eee2c13
	s_mov_b32 s31, 0xbfe14ced
	s_mov_b32 s30, s18
	s_mov_b32 s34, s16
	v_add_f64 v[101:102], v[82:83], v[14:15]
	v_add_f64 v[135:136], v[78:79], -v[18:19]
	v_add_f64 v[105:106], v[80:81], v[12:13]
	v_add_f64 v[94:95], v[74:75], v[94:95]
	;; [unrolled: 1-line block ×3, first 2 shown]
	v_mul_f64 v[167:168], v[115:116], s[26:27]
	v_mul_f64 v[171:172], v[149:150], s[26:27]
	v_mul_f64 v[177:178], v[129:130], s[30:31]
	v_mul_f64 v[190:191], v[121:122], s[28:29]
	v_add_f64 v[145:146], v[74:75], v[145:146]
	v_add_f64 v[147:148], v[72:73], v[147:148]
	;; [unrolled: 1-line block ×4, first 2 shown]
	v_fma_f64 v[194:195], v[131:132], s[10:11], v[157:158]
	v_fma_f64 v[196:197], v[151:152], s[10:11], -v[159:160]
	v_fma_f64 v[157:158], v[131:132], s[10:11], -v[157:158]
	;; [unrolled: 1-line block ×4, first 2 shown]
	v_fma_f64 v[159:160], v[151:152], s[10:11], v[159:160]
	v_fma_f64 v[161:162], v[123:124], s[10:11], v[161:162]
	v_mul_f64 v[200:201], v[121:122], s[34:35]
	v_fma_f64 v[202:203], v[119:120], s[8:9], v[179:180]
	v_fma_f64 v[204:205], v[133:134], s[8:9], v[181:182]
	v_add_f64 v[183:184], v[74:75], v[183:184]
	v_fma_f64 v[210:211], v[123:124], s[8:9], -v[192:193]
	s_mov_b32 s20, 0xd9c712b6
	s_mov_b32 s21, 0x3fda9628
	v_add_f64 v[99:100], v[76:77], v[16:17]
	v_mul_f64 v[169:170], v[135:136], s[24:25]
	v_fma_f64 v[206:207], v[101:102], s[20:21], v[167:168]
	v_fma_f64 v[208:209], v[105:106], s[20:21], -v[171:172]
	v_add_f64 v[145:146], v[163:164], v[145:146]
	v_add_f64 v[147:148], v[165:166], v[147:148]
	;; [unrolled: 1-line block ×4, first 2 shown]
	v_mul_f64 v[143:144], v[117:118], s[34:35]
	v_mul_f64 v[163:164], v[129:130], s[26:27]
	v_mul_f64 v[165:166], v[137:138], s[26:27]
	v_fma_f64 v[167:168], v[101:102], s[20:21], -v[167:168]
	v_fma_f64 v[212:213], v[139:140], s[8:9], -v[190:191]
	v_fma_f64 v[181:182], v[133:134], s[8:9], -v[181:182]
	v_add_f64 v[153:154], v[74:75], v[153:154]
	v_add_f64 v[90:91], v[94:95], v[90:91]
	v_fma_f64 v[94:95], v[105:106], s[20:21], v[171:172]
	v_add_f64 v[161:162], v[72:73], v[161:162]
	v_add_f64 v[88:89], v[92:93], v[88:89]
	;; [unrolled: 1-line block ×5, first 2 shown]
	v_add_f64 v[103:104], v[76:77], -v[16:17]
	v_mul_f64 v[175:176], v[115:116], s[16:17]
	v_mul_f64 v[188:189], v[149:150], s[16:17]
	v_add_f64 v[97:98], v[78:79], v[18:19]
	v_add_f64 v[145:146], v[194:195], v[145:146]
	;; [unrolled: 1-line block ×4, first 2 shown]
	v_fma_f64 v[157:158], v[139:140], s[8:9], v[190:191]
	v_add_f64 v[127:128], v[159:160], v[127:128]
	v_fma_f64 v[159:160], v[133:134], s[0:1], v[143:144]
	v_fma_f64 v[190:191], v[131:132], s[2:3], v[177:178]
	v_fma_f64 v[196:197], v[139:140], s[0:1], -v[200:201]
	v_fma_f64 v[194:195], v[99:100], s[8:9], -v[169:170]
	;; [unrolled: 1-line block ×3, first 2 shown]
	v_add_f64 v[153:154], v[181:182], v[153:154]
	v_add_f64 v[86:87], v[90:91], v[86:87]
	v_fma_f64 v[143:144], v[133:134], s[0:1], -v[143:144]
	v_mul_f64 v[141:142], v[137:138], s[30:31]
	v_add_f64 v[84:85], v[88:89], v[84:85]
	v_add_f64 v[198:199], v[72:73], v[198:199]
	v_mul_f64 v[173:174], v[103:104], s[26:27]
	v_fma_f64 v[88:89], v[101:102], s[0:1], -v[175:176]
	v_mul_f64 v[155:156], v[103:104], s[24:25]
	v_add_f64 v[145:146], v[206:207], v[145:146]
	v_fma_f64 v[206:207], v[105:106], s[0:1], -v[188:189]
	v_add_f64 v[125:126], v[167:168], v[125:126]
	v_fma_f64 v[167:168], v[99:100], s[8:9], v[169:170]
	v_fma_f64 v[169:170], v[119:120], s[8:9], -v[179:180]
	v_add_f64 v[157:158], v[157:158], v[161:162]
	v_fma_f64 v[161:162], v[123:124], s[8:9], v[192:193]
	v_fma_f64 v[179:180], v[131:132], s[20:21], v[163:164]
	v_add_f64 v[159:160], v[159:160], v[171:172]
	v_add_f64 v[181:182], v[190:191], v[183:184]
	v_mul_f64 v[190:191], v[149:150], s[30:31]
	v_fma_f64 v[192:193], v[151:152], s[20:21], -v[165:166]
	v_add_f64 v[196:197], v[196:197], v[202:203]
	v_mul_f64 v[202:203], v[135:136], s[26:27]
	s_mov_b32 s27, 0xbfed1bb4
	v_fma_f64 v[171:172], v[101:102], s[0:1], v[175:176]
	v_add_f64 v[90:91], v[177:178], v[153:154]
	v_fma_f64 v[153:154], v[105:106], s[0:1], v[188:189]
	v_fma_f64 v[175:176], v[139:140], s[0:1], v[200:201]
	v_add_f64 v[82:83], v[86:87], v[82:83]
	v_add_f64 v[80:81], v[84:85], v[80:81]
	v_mul_f64 v[84:85], v[113:114], s[30:31]
	v_mul_f64 v[86:87], v[113:114], s[26:27]
	v_fma_f64 v[183:184], v[97:98], s[20:21], v[173:174]
	v_fma_f64 v[113:114], v[97:98], s[20:21], -v[173:174]
	v_fma_f64 v[165:166], v[151:152], s[20:21], v[165:166]
	v_add_f64 v[169:170], v[74:75], v[169:170]
	v_fma_f64 v[163:164], v[131:132], s[20:21], -v[163:164]
	v_add_f64 v[161:162], v[72:73], v[161:162]
	v_add_f64 v[94:95], v[94:95], v[127:128]
	;; [unrolled: 1-line block ×3, first 2 shown]
	v_mul_f64 v[179:180], v[111:112], s[26:27]
	v_fma_f64 v[188:189], v[105:106], s[2:3], -v[190:191]
	v_mul_f64 v[111:112], v[111:112], s[30:31]
	v_add_f64 v[192:193], v[192:193], v[196:197]
	v_fma_f64 v[196:197], v[99:100], s[20:21], -v[202:203]
	v_mul_f64 v[127:128], v[115:116], s[30:31]
	v_fma_f64 v[204:205], v[151:152], s[2:3], -v[141:142]
	v_add_f64 v[88:89], v[88:89], v[90:91]
	v_fma_f64 v[90:91], v[99:100], s[20:21], v[202:203]
	v_fma_f64 v[141:142], v[151:152], s[2:3], v[141:142]
	v_add_f64 v[78:79], v[82:83], v[78:79]
	v_add_f64 v[76:77], v[80:81], v[76:77]
	v_fma_f64 v[80:81], v[123:124], s[2:3], v[84:85]
	v_fma_f64 v[82:83], v[123:124], s[20:21], v[86:87]
	v_fma_f64 v[86:87], v[123:124], s[20:21], -v[86:87]
	v_fma_f64 v[84:85], v[123:124], s[2:3], -v[84:85]
	v_mul_f64 v[123:124], v[129:130], s[34:35]
	v_add_f64 v[143:144], v[143:144], v[169:170]
	v_mul_f64 v[169:170], v[117:118], s[22:23]
	v_add_f64 v[161:162], v[175:176], v[161:162]
	v_mul_f64 v[117:118], v[117:118], s[26:27]
	v_mul_f64 v[175:176], v[121:122], s[22:23]
	v_fma_f64 v[173:174], v[119:120], s[20:21], -v[179:180]
	v_mul_f64 v[121:122], v[121:122], s[26:27]
	v_fma_f64 v[179:180], v[119:120], s[20:21], v[179:180]
	v_add_f64 v[188:189], v[188:189], v[192:193]
	v_fma_f64 v[192:193], v[119:120], s[2:3], -v[111:112]
	v_fma_f64 v[111:112], v[119:120], s[2:3], v[111:112]
	v_mul_f64 v[129:130], v[129:130], s[24:25]
	v_add_f64 v[198:199], v[212:213], v[198:199]
	v_fma_f64 v[177:178], v[101:102], s[2:3], v[127:128]
	v_fma_f64 v[127:128], v[101:102], s[2:3], -v[127:128]
	v_add_f64 v[18:19], v[78:79], v[18:19]
	v_add_f64 v[16:17], v[76:77], v[16:17]
	;; [unrolled: 1-line block ×6, first 2 shown]
	v_mul_f64 v[84:85], v[115:116], s[28:29]
	v_add_f64 v[143:144], v[163:164], v[143:144]
	v_fma_f64 v[163:164], v[105:106], s[2:3], v[190:191]
	v_add_f64 v[119:120], v[165:166], v[161:162]
	v_fma_f64 v[165:166], v[133:134], s[10:11], -v[169:170]
	v_fma_f64 v[200:201], v[133:134], s[20:21], -v[117:118]
	v_add_f64 v[173:174], v[74:75], v[173:174]
	v_mul_f64 v[161:162], v[137:138], s[34:35]
	v_mul_f64 v[137:138], v[137:138], s[24:25]
	v_fma_f64 v[202:203], v[139:140], s[20:21], v[121:122]
	v_add_f64 v[192:193], v[74:75], v[192:193]
	v_fma_f64 v[190:191], v[139:140], s[10:11], v[175:176]
	v_fma_f64 v[80:81], v[133:134], s[10:11], v[169:170]
	v_add_f64 v[82:83], v[74:75], v[179:180]
	v_fma_f64 v[169:170], v[139:140], s[10:11], -v[175:176]
	v_fma_f64 v[117:118], v[133:134], s[20:21], v[117:118]
	v_add_f64 v[74:75], v[74:75], v[111:112]
	v_fma_f64 v[111:112], v[139:140], s[20:21], -v[121:122]
	v_fma_f64 v[133:134], v[131:132], s[0:1], -v[123:124]
	v_mul_f64 v[115:116], v[115:116], s[22:23]
	v_add_f64 v[14:15], v[18:19], v[14:15]
	v_add_f64 v[12:13], v[16:17], v[12:13]
	v_mul_f64 v[121:122], v[149:150], s[28:29]
	v_mul_f64 v[149:150], v[149:150], s[22:23]
	v_add_f64 v[141:142], v[141:142], v[157:158]
	v_mul_f64 v[157:158], v[103:104], s[22:23]
	v_add_f64 v[171:172], v[171:172], v[181:182]
	;; [unrolled: 2-line block ×3, first 2 shown]
	v_fma_f64 v[173:174], v[131:132], s[8:9], -v[129:130]
	v_fma_f64 v[179:180], v[151:152], s[8:9], v[137:138]
	v_add_f64 v[16:17], v[202:203], v[76:77]
	v_add_f64 v[175:176], v[200:201], v[192:193]
	v_fma_f64 v[165:166], v[151:152], s[0:1], v[161:162]
	v_add_f64 v[18:19], v[190:191], v[78:79]
	v_fma_f64 v[76:77], v[131:132], s[0:1], v[123:124]
	v_add_f64 v[78:79], v[80:81], v[82:83]
	v_fma_f64 v[80:81], v[151:152], s[0:1], -v[161:162]
	v_add_f64 v[82:83], v[169:170], v[86:87]
	v_fma_f64 v[86:87], v[131:132], s[8:9], v[129:130]
	v_add_f64 v[74:75], v[117:118], v[74:75]
	v_fma_f64 v[117:118], v[151:152], s[8:9], -v[137:138]
	v_add_f64 v[72:73], v[111:112], v[72:73]
	v_fma_f64 v[129:130], v[101:102], s[8:9], -v[84:85]
	v_fma_f64 v[137:138], v[101:102], s[10:11], -v[115:116]
	v_add_f64 v[10:11], v[14:15], v[10:11]
	v_add_f64 v[8:9], v[12:13], v[8:9]
	v_mul_f64 v[111:112], v[103:104], s[18:19]
	v_mul_f64 v[123:124], v[135:136], s[18:19]
	;; [unrolled: 1-line block ×3, first 2 shown]
	v_add_f64 v[131:132], v[133:134], v[139:140]
	v_mul_f64 v[135:136], v[135:136], s[16:17]
	v_fma_f64 v[151:152], v[105:106], s[10:11], v[149:150]
	v_add_f64 v[12:13], v[179:180], v[16:17]
	v_add_f64 v[139:140], v[173:174], v[175:176]
	v_fma_f64 v[133:134], v[105:106], s[8:9], v[121:122]
	v_add_f64 v[14:15], v[165:166], v[18:19]
	v_add_f64 v[198:199], v[204:205], v[198:199]
	v_fma_f64 v[16:17], v[101:102], s[8:9], v[84:85]
	v_add_f64 v[18:19], v[76:77], v[78:79]
	v_fma_f64 v[76:77], v[105:106], s[8:9], -v[121:122]
	v_add_f64 v[78:79], v[80:81], v[82:83]
	v_fma_f64 v[80:81], v[101:102], s[10:11], v[115:116]
	v_add_f64 v[74:75], v[86:87], v[74:75]
	v_fma_f64 v[82:83], v[105:106], s[10:11], -v[149:150]
	v_add_f64 v[72:73], v[117:118], v[72:73]
	v_add_f64 v[86:87], v[127:128], v[143:144]
	;; [unrolled: 1-line block ×3, first 2 shown]
	v_fma_f64 v[84:85], v[97:98], s[10:11], -v[157:158]
	v_fma_f64 v[115:116], v[97:98], s[2:3], -v[111:112]
	v_fma_f64 v[119:120], v[99:100], s[2:3], v[123:124]
	v_fma_f64 v[121:122], v[97:98], s[0:1], -v[103:104]
	v_add_f64 v[117:118], v[129:130], v[131:132]
	v_add_f64 v[131:132], v[10:11], v[6:7]
	v_fma_f64 v[129:130], v[99:100], s[0:1], v[135:136]
	v_fma_f64 v[101:102], v[99:100], s[10:11], v[181:182]
	v_add_f64 v[127:128], v[137:138], v[139:140]
	v_add_f64 v[137:138], v[8:9], v[4:5]
	;; [unrolled: 1-line block ×5, first 2 shown]
	v_fma_f64 v[92:93], v[97:98], s[8:9], v[155:156]
	v_fma_f64 v[155:156], v[97:98], s[8:9], -v[155:156]
	v_add_f64 v[147:148], v[208:209], v[147:148]
	v_add_f64 v[198:199], v[206:207], v[198:199]
	v_fma_f64 v[153:154], v[97:98], s[10:11], v[157:158]
	v_add_f64 v[159:160], v[177:178], v[159:160]
	v_fma_f64 v[177:178], v[99:100], s[10:11], -v[181:182]
	v_fma_f64 v[111:112], v[97:98], s[2:3], v[111:112]
	v_add_f64 v[143:144], v[16:17], v[18:19]
	v_fma_f64 v[123:124], v[99:100], s[2:3], -v[123:124]
	v_add_f64 v[149:150], v[76:77], v[78:79]
	v_fma_f64 v[97:98], v[97:98], s[0:1], v[103:104]
	v_add_f64 v[103:104], v[80:81], v[74:75]
	v_fma_f64 v[99:100], v[99:100], s[0:1], -v[135:136]
	v_add_f64 v[135:136], v[82:83], v[72:73]
	v_add_f64 v[2:3], v[131:132], v[2:3]
	;; [unrolled: 1-line block ×23, first 2 shown]
	v_mov_b32_e32 v97, 4
	v_lshlrev_b32_sdwa v97, v97, v187 dst_sel:DWORD dst_unused:UNUSED_PAD src0_sel:DWORD src1_sel:WORD_0
	ds_write_b128 v97, v[0:3]
	ds_write_b128 v97, v[80:83] offset:16
	ds_write_b128 v97, v[76:79] offset:32
	;; [unrolled: 1-line block ×10, first 2 shown]
.LBB0_13:
	s_or_b32 exec_lo, exec_lo, s33
	s_waitcnt lgkmcnt(0)
	s_barrier
	buffer_gl0_inv
	ds_read_b128 v[0:3], v107 offset:3168
	ds_read_b128 v[4:7], v107 offset:6336
	;; [unrolled: 1-line block ×4, first 2 shown]
	s_mov_b32 s0, 0xe8584caa
	s_mov_b32 s1, 0xbfebb67a
	;; [unrolled: 1-line block ×4, first 2 shown]
	s_waitcnt lgkmcnt(3)
	v_mul_f64 v[16:17], v[26:27], v[2:3]
	s_waitcnt lgkmcnt(2)
	v_mul_f64 v[18:19], v[22:23], v[6:7]
	v_mul_f64 v[26:27], v[26:27], v[0:1]
	;; [unrolled: 1-line block ×3, first 2 shown]
	s_waitcnt lgkmcnt(1)
	v_mul_f64 v[72:73], v[34:35], v[10:11]
	s_waitcnt lgkmcnt(0)
	v_mul_f64 v[74:75], v[30:31], v[14:15]
	v_mul_f64 v[34:35], v[34:35], v[8:9]
	;; [unrolled: 1-line block ×3, first 2 shown]
	v_fma_f64 v[16:17], v[24:25], v[0:1], v[16:17]
	v_fma_f64 v[18:19], v[20:21], v[4:5], v[18:19]
	v_fma_f64 v[24:25], v[24:25], v[2:3], -v[26:27]
	v_fma_f64 v[20:21], v[20:21], v[6:7], -v[22:23]
	v_fma_f64 v[8:9], v[32:33], v[8:9], v[72:73]
	v_fma_f64 v[12:13], v[28:29], v[12:13], v[74:75]
	v_fma_f64 v[10:11], v[32:33], v[10:11], -v[34:35]
	v_fma_f64 v[14:15], v[28:29], v[14:15], -v[30:31]
	ds_read_b128 v[0:3], v107
	ds_read_b128 v[4:7], v107 offset:1584
	s_waitcnt lgkmcnt(0)
	s_barrier
	buffer_gl0_inv
	v_add_f64 v[22:23], v[16:17], v[18:19]
	v_add_f64 v[26:27], v[24:25], v[20:21]
	v_add_f64 v[34:35], v[24:25], -v[20:21]
	v_add_f64 v[28:29], v[8:9], v[12:13]
	v_add_f64 v[32:33], v[0:1], v[16:17]
	;; [unrolled: 1-line block ×4, first 2 shown]
	v_add_f64 v[16:17], v[16:17], -v[18:19]
	v_add_f64 v[72:73], v[4:5], v[8:9]
	v_add_f64 v[74:75], v[6:7], v[10:11]
	v_add_f64 v[76:77], v[10:11], -v[14:15]
	v_add_f64 v[78:79], v[8:9], -v[12:13]
	v_fma_f64 v[22:23], v[22:23], -0.5, v[0:1]
	v_fma_f64 v[26:27], v[26:27], -0.5, v[2:3]
	v_fma_f64 v[28:29], v[28:29], -0.5, v[4:5]
	v_add_f64 v[0:1], v[32:33], v[18:19]
	v_fma_f64 v[30:31], v[30:31], -0.5, v[6:7]
	v_add_f64 v[2:3], v[24:25], v[20:21]
	v_add_f64 v[4:5], v[72:73], v[12:13]
	;; [unrolled: 1-line block ×3, first 2 shown]
	v_fma_f64 v[8:9], v[34:35], s[0:1], v[22:23]
	v_fma_f64 v[12:13], v[34:35], s[2:3], v[22:23]
	;; [unrolled: 1-line block ×8, first 2 shown]
	ds_write_b128 v109, v[0:3]
	ds_write_b128 v109, v[8:11] offset:176
	ds_write_b128 v109, v[12:15] offset:352
	ds_write_b128 v108, v[4:7]
	ds_write_b128 v108, v[16:19] offset:176
	ds_write_b128 v108, v[20:23] offset:352
	s_waitcnt lgkmcnt(0)
	s_barrier
	buffer_gl0_inv
	ds_read_b128 v[0:3], v107 offset:4752
	ds_read_b128 v[4:7], v107 offset:7920
	;; [unrolled: 1-line block ×5, first 2 shown]
	s_waitcnt lgkmcnt(4)
	v_mul_f64 v[20:21], v[38:39], v[0:1]
	s_waitcnt lgkmcnt(3)
	v_mul_f64 v[22:23], v[54:55], v[4:5]
	;; [unrolled: 2-line block ×3, first 2 shown]
	v_mul_f64 v[26:27], v[38:39], v[2:3]
	v_mul_f64 v[28:29], v[54:55], v[6:7]
	s_waitcnt lgkmcnt(1)
	v_mul_f64 v[30:31], v[50:51], v[12:13]
	s_waitcnt lgkmcnt(0)
	v_mul_f64 v[32:33], v[46:47], v[18:19]
	v_mul_f64 v[34:35], v[46:47], v[16:17]
	v_fma_f64 v[20:21], v[36:37], v[2:3], -v[20:21]
	v_fma_f64 v[6:7], v[52:53], v[6:7], -v[22:23]
	v_mul_f64 v[2:3], v[42:43], v[10:11]
	v_mul_f64 v[22:23], v[50:51], v[14:15]
	v_fma_f64 v[26:27], v[36:37], v[0:1], v[26:27]
	v_fma_f64 v[4:5], v[52:53], v[4:5], v[28:29]
	v_fma_f64 v[10:11], v[40:41], v[10:11], -v[24:25]
	v_fma_f64 v[14:15], v[48:49], v[14:15], -v[30:31]
	v_fma_f64 v[16:17], v[44:45], v[16:17], v[32:33]
	v_fma_f64 v[18:19], v[44:45], v[18:19], -v[34:35]
	v_add_f64 v[0:1], v[20:21], v[6:7]
	v_fma_f64 v[8:9], v[40:41], v[8:9], v[2:3]
	v_fma_f64 v[12:13], v[48:49], v[12:13], v[22:23]
	v_add_f64 v[34:35], v[20:21], -v[6:7]
	v_add_f64 v[22:23], v[26:27], v[4:5]
	v_add_f64 v[24:25], v[26:27], -v[4:5]
	v_add_f64 v[32:33], v[14:15], v[18:19]
	v_add_f64 v[38:39], v[14:15], -v[18:19]
	v_fma_f64 v[28:29], v[0:1], -0.5, v[10:11]
	ds_read_b128 v[0:3], v107
	v_add_f64 v[30:31], v[12:13], v[16:17]
	v_add_f64 v[10:11], v[10:11], v[20:21]
	v_fma_f64 v[22:23], v[22:23], -0.5, v[8:9]
	v_add_f64 v[8:9], v[8:9], v[26:27]
	s_waitcnt lgkmcnt(0)
	s_barrier
	buffer_gl0_inv
	v_add_f64 v[14:15], v[2:3], v[14:15]
	v_fma_f64 v[36:37], v[24:25], s[2:3], v[28:29]
	v_fma_f64 v[24:25], v[24:25], s[0:1], v[28:29]
	v_add_f64 v[28:29], v[0:1], v[12:13]
	v_add_f64 v[12:13], v[12:13], -v[16:17]
	v_fma_f64 v[0:1], v[30:31], -0.5, v[0:1]
	v_fma_f64 v[2:3], v[32:33], -0.5, v[2:3]
	v_fma_f64 v[20:21], v[34:35], s[0:1], v[22:23]
	v_fma_f64 v[22:23], v[34:35], s[2:3], v[22:23]
	v_add_f64 v[4:5], v[8:9], v[4:5]
	v_add_f64 v[6:7], v[10:11], v[6:7]
	;; [unrolled: 1-line block ×3, first 2 shown]
	v_mul_f64 v[26:27], v[36:37], s[0:1]
	v_mul_f64 v[32:33], v[36:37], 0.5
	v_mul_f64 v[30:31], v[24:25], s[0:1]
	v_mul_f64 v[24:25], v[24:25], -0.5
	v_add_f64 v[16:17], v[28:29], v[16:17]
	v_fma_f64 v[18:19], v[38:39], s[0:1], v[0:1]
	v_fma_f64 v[34:35], v[12:13], s[2:3], v[2:3]
	;; [unrolled: 1-line block ×4, first 2 shown]
	v_add_f64 v[2:3], v[14:15], v[6:7]
	v_fma_f64 v[26:27], v[20:21], 0.5, v[26:27]
	v_fma_f64 v[32:33], v[20:21], s[2:3], v[32:33]
	v_fma_f64 v[30:31], v[22:23], -0.5, v[30:31]
	v_fma_f64 v[22:23], v[22:23], s[2:3], v[24:25]
	v_add_f64 v[0:1], v[16:17], v[4:5]
	v_add_f64 v[4:5], v[16:17], -v[4:5]
	v_add_f64 v[6:7], v[14:15], -v[6:7]
	v_add_f64 v[8:9], v[18:19], v[26:27]
	v_add_f64 v[10:11], v[34:35], v[32:33]
	;; [unrolled: 1-line block ×4, first 2 shown]
	v_add_f64 v[16:17], v[18:19], -v[26:27]
	v_add_f64 v[18:19], v[34:35], -v[32:33]
	;; [unrolled: 1-line block ×4, first 2 shown]
	ds_write_b128 v110, v[0:3]
	ds_write_b128 v110, v[4:7] offset:1584
	ds_write_b128 v110, v[8:11] offset:528
	;; [unrolled: 1-line block ×5, first 2 shown]
	s_waitcnt lgkmcnt(0)
	s_barrier
	buffer_gl0_inv
	ds_read_b128 v[0:3], v107 offset:3168
	ds_read_b128 v[4:7], v107 offset:6336
	;; [unrolled: 1-line block ×4, first 2 shown]
	s_waitcnt lgkmcnt(3)
	v_mul_f64 v[16:17], v[58:59], v[2:3]
	s_waitcnt lgkmcnt(2)
	v_mul_f64 v[18:19], v[62:63], v[6:7]
	v_mul_f64 v[20:21], v[58:59], v[0:1]
	;; [unrolled: 1-line block ×3, first 2 shown]
	s_waitcnt lgkmcnt(1)
	v_mul_f64 v[24:25], v[66:67], v[10:11]
	s_waitcnt lgkmcnt(0)
	v_mul_f64 v[26:27], v[70:71], v[14:15]
	v_mul_f64 v[28:29], v[66:67], v[8:9]
	;; [unrolled: 1-line block ×3, first 2 shown]
	v_fma_f64 v[16:17], v[56:57], v[0:1], v[16:17]
	v_fma_f64 v[18:19], v[60:61], v[4:5], v[18:19]
	v_fma_f64 v[20:21], v[56:57], v[2:3], -v[20:21]
	v_fma_f64 v[22:23], v[60:61], v[6:7], -v[22:23]
	v_fma_f64 v[8:9], v[64:65], v[8:9], v[24:25]
	v_fma_f64 v[12:13], v[68:69], v[12:13], v[26:27]
	v_fma_f64 v[10:11], v[64:65], v[10:11], -v[28:29]
	v_fma_f64 v[14:15], v[68:69], v[14:15], -v[30:31]
	ds_read_b128 v[0:3], v107
	ds_read_b128 v[4:7], v107 offset:1584
	v_add_f64 v[24:25], v[16:17], v[18:19]
	v_add_f64 v[26:27], v[20:21], v[22:23]
	v_add_f64 v[34:35], v[20:21], -v[22:23]
	v_add_f64 v[28:29], v[8:9], v[12:13]
	s_waitcnt lgkmcnt(1)
	v_add_f64 v[32:33], v[0:1], v[16:17]
	v_add_f64 v[30:31], v[10:11], v[14:15]
	;; [unrolled: 1-line block ×3, first 2 shown]
	s_waitcnt lgkmcnt(0)
	v_add_f64 v[36:37], v[4:5], v[8:9]
	v_add_f64 v[38:39], v[6:7], v[10:11]
	v_add_f64 v[16:17], v[16:17], -v[18:19]
	v_add_f64 v[40:41], v[10:11], -v[14:15]
	;; [unrolled: 1-line block ×3, first 2 shown]
	v_fma_f64 v[24:25], v[24:25], -0.5, v[0:1]
	v_fma_f64 v[26:27], v[26:27], -0.5, v[2:3]
	;; [unrolled: 1-line block ×3, first 2 shown]
	v_add_f64 v[0:1], v[32:33], v[18:19]
	v_fma_f64 v[30:31], v[30:31], -0.5, v[6:7]
	v_add_f64 v[2:3], v[20:21], v[22:23]
	v_add_f64 v[4:5], v[36:37], v[12:13]
	;; [unrolled: 1-line block ×3, first 2 shown]
	v_fma_f64 v[8:9], v[34:35], s[0:1], v[24:25]
	v_fma_f64 v[12:13], v[34:35], s[2:3], v[24:25]
	;; [unrolled: 1-line block ×8, first 2 shown]
	ds_write_b128 v107, v[0:3]
	ds_write_b128 v107, v[4:7] offset:1584
	ds_write_b128 v107, v[8:11] offset:3168
	;; [unrolled: 1-line block ×5, first 2 shown]
	s_waitcnt lgkmcnt(0)
	s_barrier
	buffer_gl0_inv
	s_and_b32 exec_lo, exec_lo, vcc_lo
	s_cbranch_execz .LBB0_15
; %bb.14:
	v_add_co_u32 v32, s0, s14, v185
	v_add_co_ci_u32_e64 v33, null, s15, 0, s0
	v_mad_u64_u32 v[48:49], null, s4, v186, 0
	v_add_co_u32 v16, vcc_lo, 0x800, v32
	v_add_co_ci_u32_e32 v17, vcc_lo, 0, v33, vcc_lo
	v_add_co_u32 v28, vcc_lo, 0x1000, v32
	v_add_co_ci_u32_e32 v29, vcc_lo, 0, v33, vcc_lo
	;; [unrolled: 2-line block ×3, first 2 shown]
	v_add_co_u32 v40, vcc_lo, 0x2000, v32
	s_clause 0x7
	global_load_dwordx4 v[0:3], v185, s[14:15]
	global_load_dwordx4 v[4:7], v185, s[14:15] offset:864
	global_load_dwordx4 v[8:11], v185, s[14:15] offset:1728
	global_load_dwordx4 v[12:15], v[16:17], off offset:544
	global_load_dwordx4 v[16:19], v[16:17], off offset:1408
	;; [unrolled: 1-line block ×5, first 2 shown]
	v_add_co_ci_u32_e32 v41, vcc_lo, 0, v33, vcc_lo
	s_clause 0x2
	global_load_dwordx4 v[32:35], v[36:37], off offset:768
	global_load_dwordx4 v[36:39], v[36:37], off offset:1632
	;; [unrolled: 1-line block ×3, first 2 shown]
	v_mad_u64_u32 v[44:45], null, s6, v96, 0
	v_mov_b32_e32 v46, v49
	s_mul_i32 s0, s5, 0x360
	s_mul_hi_u32 s1, s4, 0x360
	s_mul_i32 s2, s4, 0x360
	s_add_i32 s3, s1, s0
	s_mov_b32 s0, 0x2b18ff23
	v_mad_u64_u32 v[49:50], null, s7, v96, v[45:46]
	v_mad_u64_u32 v[46:47], null, s5, v186, v[46:47]
	s_mov_b32 s1, 0x3f5b951e
	v_mov_b32_e32 v45, v49
	v_mov_b32_e32 v49, v46
	v_lshlrev_b64 v[50:51], 4, v[44:45]
	ds_read_b128 v[44:47], v107
	v_lshlrev_b64 v[48:49], 4, v[48:49]
	v_add_co_u32 v50, vcc_lo, s12, v50
	v_add_co_ci_u32_e32 v51, vcc_lo, s13, v51, vcc_lo
	v_add_co_u32 v88, vcc_lo, v50, v48
	v_add_co_ci_u32_e32 v89, vcc_lo, v51, v49, vcc_lo
	ds_read_b128 v[48:51], v185 offset:864
	ds_read_b128 v[52:55], v185 offset:1728
	;; [unrolled: 1-line block ×10, first 2 shown]
	v_add_co_u32 v90, vcc_lo, v88, s2
	v_add_co_ci_u32_e32 v91, vcc_lo, s3, v89, vcc_lo
	v_add_co_u32 v92, vcc_lo, v90, s2
	v_add_co_ci_u32_e32 v93, vcc_lo, s3, v91, vcc_lo
	;; [unrolled: 2-line block ×7, first 2 shown]
	s_waitcnt vmcnt(10) lgkmcnt(10)
	v_mul_f64 v[104:105], v[46:47], v[2:3]
	v_mul_f64 v[2:3], v[44:45], v[2:3]
	s_waitcnt vmcnt(9) lgkmcnt(9)
	v_mul_f64 v[106:107], v[50:51], v[6:7]
	v_mul_f64 v[6:7], v[48:49], v[6:7]
	;; [unrolled: 3-line block ×11, first 2 shown]
	v_fma_f64 v[44:45], v[44:45], v[0:1], v[104:105]
	v_fma_f64 v[2:3], v[0:1], v[46:47], -v[2:3]
	v_fma_f64 v[46:47], v[48:49], v[4:5], v[106:107]
	v_fma_f64 v[6:7], v[4:5], v[50:51], -v[6:7]
	v_fma_f64 v[48:49], v[52:53], v[8:9], v[108:109]
	v_fma_f64 v[10:11], v[8:9], v[54:55], -v[10:11]
	v_fma_f64 v[50:51], v[56:57], v[12:13], v[110:111]
	v_fma_f64 v[14:15], v[12:13], v[58:59], -v[14:15]
	v_fma_f64 v[52:53], v[60:61], v[16:17], v[112:113]
	v_fma_f64 v[18:19], v[16:17], v[62:63], -v[18:19]
	v_fma_f64 v[54:55], v[64:65], v[20:21], v[114:115]
	v_fma_f64 v[22:23], v[20:21], v[66:67], -v[22:23]
	v_fma_f64 v[56:57], v[68:69], v[24:25], v[116:117]
	v_fma_f64 v[26:27], v[24:25], v[70:71], -v[26:27]
	v_fma_f64 v[58:59], v[72:73], v[28:29], v[118:119]
	v_fma_f64 v[30:31], v[28:29], v[74:75], -v[30:31]
	v_fma_f64 v[60:61], v[76:77], v[32:33], v[120:121]
	v_fma_f64 v[34:35], v[32:33], v[78:79], -v[34:35]
	v_fma_f64 v[62:63], v[80:81], v[36:37], v[122:123]
	v_fma_f64 v[38:39], v[36:37], v[82:83], -v[38:39]
	v_fma_f64 v[64:65], v[84:85], v[40:41], v[124:125]
	v_fma_f64 v[42:43], v[40:41], v[86:87], -v[42:43]
	v_mul_f64 v[0:1], v[44:45], s[0:1]
	v_mul_f64 v[2:3], v[2:3], s[0:1]
	;; [unrolled: 1-line block ×22, first 2 shown]
	v_add_co_u32 v44, vcc_lo, v102, s2
	v_add_co_ci_u32_e32 v45, vcc_lo, s3, v103, vcc_lo
	v_add_co_u32 v46, vcc_lo, v44, s2
	v_add_co_ci_u32_e32 v47, vcc_lo, s3, v45, vcc_lo
	;; [unrolled: 2-line block ×3, first 2 shown]
	global_store_dwordx4 v[88:89], v[0:3], off
	global_store_dwordx4 v[90:91], v[4:7], off
	;; [unrolled: 1-line block ×11, first 2 shown]
.LBB0_15:
	s_endpgm
	.section	.rodata,"a",@progbits
	.p2align	6, 0x0
	.amdhsa_kernel bluestein_single_fwd_len594_dim1_dp_op_CI_CI
		.amdhsa_group_segment_fixed_size 9504
		.amdhsa_private_segment_fixed_size 0
		.amdhsa_kernarg_size 104
		.amdhsa_user_sgpr_count 6
		.amdhsa_user_sgpr_private_segment_buffer 1
		.amdhsa_user_sgpr_dispatch_ptr 0
		.amdhsa_user_sgpr_queue_ptr 0
		.amdhsa_user_sgpr_kernarg_segment_ptr 1
		.amdhsa_user_sgpr_dispatch_id 0
		.amdhsa_user_sgpr_flat_scratch_init 0
		.amdhsa_user_sgpr_private_segment_size 0
		.amdhsa_wavefront_size32 1
		.amdhsa_uses_dynamic_stack 0
		.amdhsa_system_sgpr_private_segment_wavefront_offset 0
		.amdhsa_system_sgpr_workgroup_id_x 1
		.amdhsa_system_sgpr_workgroup_id_y 0
		.amdhsa_system_sgpr_workgroup_id_z 0
		.amdhsa_system_sgpr_workgroup_info 0
		.amdhsa_system_vgpr_workitem_id 0
		.amdhsa_next_free_vgpr 254
		.amdhsa_next_free_sgpr 36
		.amdhsa_reserve_vcc 1
		.amdhsa_reserve_flat_scratch 0
		.amdhsa_float_round_mode_32 0
		.amdhsa_float_round_mode_16_64 0
		.amdhsa_float_denorm_mode_32 3
		.amdhsa_float_denorm_mode_16_64 3
		.amdhsa_dx10_clamp 1
		.amdhsa_ieee_mode 1
		.amdhsa_fp16_overflow 0
		.amdhsa_workgroup_processor_mode 1
		.amdhsa_memory_ordered 1
		.amdhsa_forward_progress 0
		.amdhsa_shared_vgpr_count 0
		.amdhsa_exception_fp_ieee_invalid_op 0
		.amdhsa_exception_fp_denorm_src 0
		.amdhsa_exception_fp_ieee_div_zero 0
		.amdhsa_exception_fp_ieee_overflow 0
		.amdhsa_exception_fp_ieee_underflow 0
		.amdhsa_exception_fp_ieee_inexact 0
		.amdhsa_exception_int_div_zero 0
	.end_amdhsa_kernel
	.text
.Lfunc_end0:
	.size	bluestein_single_fwd_len594_dim1_dp_op_CI_CI, .Lfunc_end0-bluestein_single_fwd_len594_dim1_dp_op_CI_CI
                                        ; -- End function
	.section	.AMDGPU.csdata,"",@progbits
; Kernel info:
; codeLenInByte = 13172
; NumSgprs: 38
; NumVgprs: 254
; ScratchSize: 0
; MemoryBound: 0
; FloatMode: 240
; IeeeMode: 1
; LDSByteSize: 9504 bytes/workgroup (compile time only)
; SGPRBlocks: 4
; VGPRBlocks: 31
; NumSGPRsForWavesPerEU: 38
; NumVGPRsForWavesPerEU: 254
; Occupancy: 4
; WaveLimiterHint : 1
; COMPUTE_PGM_RSRC2:SCRATCH_EN: 0
; COMPUTE_PGM_RSRC2:USER_SGPR: 6
; COMPUTE_PGM_RSRC2:TRAP_HANDLER: 0
; COMPUTE_PGM_RSRC2:TGID_X_EN: 1
; COMPUTE_PGM_RSRC2:TGID_Y_EN: 0
; COMPUTE_PGM_RSRC2:TGID_Z_EN: 0
; COMPUTE_PGM_RSRC2:TIDIG_COMP_CNT: 0
	.text
	.p2alignl 6, 3214868480
	.fill 48, 4, 3214868480
	.type	__hip_cuid_e3fca3ca7b8c600e,@object ; @__hip_cuid_e3fca3ca7b8c600e
	.section	.bss,"aw",@nobits
	.globl	__hip_cuid_e3fca3ca7b8c600e
__hip_cuid_e3fca3ca7b8c600e:
	.byte	0                               ; 0x0
	.size	__hip_cuid_e3fca3ca7b8c600e, 1

	.ident	"AMD clang version 19.0.0git (https://github.com/RadeonOpenCompute/llvm-project roc-6.4.0 25133 c7fe45cf4b819c5991fe208aaa96edf142730f1d)"
	.section	".note.GNU-stack","",@progbits
	.addrsig
	.addrsig_sym __hip_cuid_e3fca3ca7b8c600e
	.amdgpu_metadata
---
amdhsa.kernels:
  - .args:
      - .actual_access:  read_only
        .address_space:  global
        .offset:         0
        .size:           8
        .value_kind:     global_buffer
      - .actual_access:  read_only
        .address_space:  global
        .offset:         8
        .size:           8
        .value_kind:     global_buffer
      - .actual_access:  read_only
        .address_space:  global
        .offset:         16
        .size:           8
        .value_kind:     global_buffer
      - .actual_access:  read_only
        .address_space:  global
        .offset:         24
        .size:           8
        .value_kind:     global_buffer
      - .actual_access:  read_only
        .address_space:  global
        .offset:         32
        .size:           8
        .value_kind:     global_buffer
      - .offset:         40
        .size:           8
        .value_kind:     by_value
      - .address_space:  global
        .offset:         48
        .size:           8
        .value_kind:     global_buffer
      - .address_space:  global
        .offset:         56
        .size:           8
        .value_kind:     global_buffer
      - .address_space:  global
        .offset:         64
        .size:           8
        .value_kind:     global_buffer
      - .address_space:  global
        .offset:         72
        .size:           8
        .value_kind:     global_buffer
      - .offset:         80
        .size:           4
        .value_kind:     by_value
      - .address_space:  global
        .offset:         88
        .size:           8
        .value_kind:     global_buffer
      - .address_space:  global
        .offset:         96
        .size:           8
        .value_kind:     global_buffer
    .group_segment_fixed_size: 9504
    .kernarg_segment_align: 8
    .kernarg_segment_size: 104
    .language:       OpenCL C
    .language_version:
      - 2
      - 0
    .max_flat_workgroup_size: 99
    .name:           bluestein_single_fwd_len594_dim1_dp_op_CI_CI
    .private_segment_fixed_size: 0
    .sgpr_count:     38
    .sgpr_spill_count: 0
    .symbol:         bluestein_single_fwd_len594_dim1_dp_op_CI_CI.kd
    .uniform_work_group_size: 1
    .uses_dynamic_stack: false
    .vgpr_count:     254
    .vgpr_spill_count: 0
    .wavefront_size: 32
    .workgroup_processor_mode: 1
amdhsa.target:   amdgcn-amd-amdhsa--gfx1030
amdhsa.version:
  - 1
  - 2
...

	.end_amdgpu_metadata
